;; amdgpu-corpus repo=ROCm/bitsandbytes kind=harvested arch=n/a opt=n/a
	.text
	.amdgcn_target "amdgcn-amd-amdhsa--gfx1100"
	.amdhsa_code_object_version 6
	.protected	_Z22kdequant_mm_int32_fp16ILi4ELi512EEvPiPfS1_P6__halfS3_iii ; -- Begin function _Z22kdequant_mm_int32_fp16ILi4ELi512EEvPiPfS1_P6__halfS3_iii
	.globl	_Z22kdequant_mm_int32_fp16ILi4ELi512EEvPiPfS1_P6__halfS3_iii
	.p2align	8
	.type	_Z22kdequant_mm_int32_fp16ILi4ELi512EEvPiPfS1_P6__halfS3_iii,@function
_Z22kdequant_mm_int32_fp16ILi4ELi512EEvPiPfS1_P6__halfS3_iii: ; @_Z22kdequant_mm_int32_fp16ILi4ELi512EEvPiPfS1_P6__halfS3_iii
; %bb.0:
	s_load_b64 s[8:9], s[0:1], 0x28
	s_lshl_b32 s2, s15, 11
	v_mov_b32_e32 v10, 0
	v_dual_mov_b32 v9, 0 :: v_dual_lshlrev_b32 v8, 2, v0
	s_delay_alu instid0(VALU_DEP_1) | instskip(NEXT) | instid1(VALU_DEP_1)
	v_add_nc_u32_e32 v4, s2, v8
	v_sub_nc_u32_e32 v2, 0, v4
	s_delay_alu instid0(VALU_DEP_1)
	v_max_i32_e32 v2, v4, v2
	s_waitcnt lgkmcnt(0)
	s_cmp_lt_i32 s9, 0
	s_cselect_b32 s13, -1, 0
	s_cmp_gt_i32 s9, -1
	s_cselect_b32 s12, -1, 0
	s_abs_i32 s3, s9
	s_delay_alu instid0(SALU_CYCLE_1) | instskip(SKIP_1) | instid1(VALU_DEP_1)
	v_cvt_f32_u32_e32 v1, s3
	s_sub_i32 s4, 0, s3
	v_rcp_iflag_f32_e32 v1, v1
	s_waitcnt_depctr 0xfff
	v_mul_f32_e32 v1, 0x4f7ffffe, v1
	s_delay_alu instid0(VALU_DEP_1) | instskip(NEXT) | instid1(VALU_DEP_1)
	v_cvt_u32_f32_e32 v1, v1
	v_mul_lo_u32 v0, s4, v1
	s_ashr_i32 s4, s9, 31
	s_delay_alu instid0(VALU_DEP_1) | instskip(NEXT) | instid1(VALU_DEP_1)
	v_mul_hi_u32 v0, v1, v0
	v_add_nc_u32_e32 v6, v1, v0
	s_delay_alu instid0(VALU_DEP_1) | instskip(NEXT) | instid1(VALU_DEP_1)
	v_mul_hi_u32 v0, v2, v6
	v_mul_lo_u32 v1, v0, s3
	s_delay_alu instid0(VALU_DEP_1) | instskip(SKIP_1) | instid1(VALU_DEP_2)
	v_sub_nc_u32_e32 v1, v2, v1
	v_add_nc_u32_e32 v2, 1, v0
	v_subrev_nc_u32_e32 v3, s3, v1
	v_cmp_le_u32_e32 vcc_lo, s3, v1
	s_delay_alu instid0(VALU_DEP_2) | instskip(SKIP_1) | instid1(VALU_DEP_2)
	v_dual_cndmask_b32 v0, v0, v2 :: v_dual_cndmask_b32 v1, v1, v3
	v_ashrrev_i32_e32 v5, 31, v4
	v_add_nc_u32_e32 v2, 1, v0
	s_delay_alu instid0(VALU_DEP_3) | instskip(NEXT) | instid1(VALU_DEP_3)
	v_cmp_le_u32_e32 vcc_lo, s3, v1
	v_xor_b32_e32 v7, s4, v5
	s_load_b128 s[4:7], s[0:1], 0x8
	s_delay_alu instid0(VALU_DEP_3) | instskip(SKIP_1) | instid1(VALU_DEP_1)
	v_cndmask_b32_e32 v0, v0, v2, vcc_lo
	s_and_b32 vcc_lo, exec_lo, s12
	v_xor_b32_e32 v0, v0, v7
	s_delay_alu instid0(VALU_DEP_1) | instskip(NEXT) | instid1(VALU_DEP_1)
	v_sub_nc_u32_e32 v2, v0, v7
	v_mul_lo_u32 v0, v2, s9
	s_delay_alu instid0(VALU_DEP_1) | instskip(NEXT) | instid1(VALU_DEP_1)
	v_sub_nc_u32_e32 v0, v4, v0
	v_ashrrev_i32_e32 v1, 31, v0
	s_cbranch_vccz .LBB37_2
; %bb.1:
	s_delay_alu instid0(VALU_DEP_1) | instskip(SKIP_1) | instid1(VALU_DEP_1)
	v_lshlrev_b64 v[10:11], 2, v[0:1]
	s_waitcnt lgkmcnt(0)
	v_add_co_u32 v10, vcc_lo, s6, v10
	s_delay_alu instid0(VALU_DEP_2)
	v_add_co_ci_u32_e32 v11, vcc_lo, s7, v11, vcc_lo
	global_load_b32 v10, v[10:11], off
.LBB37_2:
	s_load_b64 s[10:11], s[0:1], 0x20
	s_mov_b32 s14, exec_lo
	v_cmpx_gt_i32_e64 s8, v2
	s_cbranch_execz .LBB37_4
; %bb.3:
	v_ashrrev_i32_e32 v3, 31, v2
	s_delay_alu instid0(VALU_DEP_1) | instskip(SKIP_1) | instid1(VALU_DEP_1)
	v_lshlrev_b64 v[2:3], 2, v[2:3]
	s_waitcnt lgkmcnt(0)
	v_add_co_u32 v2, vcc_lo, s4, v2
	s_delay_alu instid0(VALU_DEP_2)
	v_add_co_ci_u32_e32 v3, vcc_lo, s5, v3, vcc_lo
	global_load_b32 v9, v[2:3], off
.LBB37_4:
	s_or_b32 exec_lo, exec_lo, s14
	s_waitcnt lgkmcnt(0)
	s_cmp_eq_u64 s[10:11], 0
	v_mov_b32_e32 v11, 0
	s_cselect_b32 s14, -1, 0
	v_mov_b32_e32 v13, 0
	s_or_b32 s13, s14, s13
	s_delay_alu instid0(SALU_CYCLE_1)
	s_and_b32 vcc_lo, exec_lo, s13
	s_cbranch_vccnz .LBB37_6
; %bb.5:
	v_lshlrev_b64 v[0:1], 1, v[0:1]
	s_delay_alu instid0(VALU_DEP_1) | instskip(NEXT) | instid1(VALU_DEP_2)
	v_add_co_u32 v0, vcc_lo, s10, v0
	v_add_co_ci_u32_e32 v1, vcc_lo, s11, v1, vcc_lo
	global_load_u16 v0, v[0:1], off
	s_waitcnt vmcnt(0)
	v_cvt_f32_f16_e32 v13, v0
.LBB37_6:
	v_or_b32_e32 v12, 1, v4
	v_cndmask_b32_e64 v22, 0, 1, s12
	s_delay_alu instid0(VALU_DEP_2) | instskip(NEXT) | instid1(VALU_DEP_1)
	v_add_nc_u32_e32 v0, v12, v5
	v_xor_b32_e32 v0, v0, v5
	s_delay_alu instid0(VALU_DEP_1) | instskip(NEXT) | instid1(VALU_DEP_1)
	v_mul_hi_u32 v1, v0, v6
	v_mul_lo_u32 v2, v1, s3
	s_delay_alu instid0(VALU_DEP_1) | instskip(SKIP_1) | instid1(VALU_DEP_2)
	v_sub_nc_u32_e32 v0, v0, v2
	v_add_nc_u32_e32 v2, 1, v1
	v_subrev_nc_u32_e32 v3, s3, v0
	v_cmp_le_u32_e32 vcc_lo, s3, v0
	s_delay_alu instid0(VALU_DEP_2) | instskip(NEXT) | instid1(VALU_DEP_1)
	v_dual_cndmask_b32 v1, v1, v2 :: v_dual_cndmask_b32 v0, v0, v3
	v_add_nc_u32_e32 v2, 1, v1
	s_delay_alu instid0(VALU_DEP_2) | instskip(NEXT) | instid1(VALU_DEP_2)
	v_cmp_le_u32_e32 vcc_lo, s3, v0
	v_cndmask_b32_e32 v0, v1, v2, vcc_lo
	s_and_not1_b32 vcc_lo, exec_lo, s12
	s_delay_alu instid0(VALU_DEP_1) | instskip(NEXT) | instid1(VALU_DEP_1)
	v_xor_b32_e32 v0, v0, v7
	v_sub_nc_u32_e32 v2, v0, v7
	s_delay_alu instid0(VALU_DEP_1) | instskip(NEXT) | instid1(VALU_DEP_1)
	v_mul_lo_u32 v0, v2, s9
	v_sub_nc_u32_e32 v0, v12, v0
	s_delay_alu instid0(VALU_DEP_1)
	v_ashrrev_i32_e32 v1, 31, v0
	s_cbranch_vccnz .LBB37_8
; %bb.7:
	s_delay_alu instid0(VALU_DEP_1) | instskip(NEXT) | instid1(VALU_DEP_1)
	v_lshlrev_b64 v[14:15], 2, v[0:1]
	v_add_co_u32 v14, vcc_lo, s6, v14
	s_delay_alu instid0(VALU_DEP_2)
	v_add_co_ci_u32_e32 v15, vcc_lo, s7, v15, vcc_lo
	global_load_b32 v11, v[14:15], off
.LBB37_8:
	v_dual_mov_b32 v14, 0 :: v_dual_mov_b32 v15, 0
	s_xor_b32 s12, s13, -1
	s_mov_b32 s13, exec_lo
	v_cmpx_gt_i32_e64 s8, v2
	s_cbranch_execz .LBB37_10
; %bb.9:
	v_ashrrev_i32_e32 v3, 31, v2
	s_delay_alu instid0(VALU_DEP_1) | instskip(NEXT) | instid1(VALU_DEP_1)
	v_lshlrev_b64 v[2:3], 2, v[2:3]
	v_add_co_u32 v2, vcc_lo, s4, v2
	s_delay_alu instid0(VALU_DEP_2)
	v_add_co_ci_u32_e32 v3, vcc_lo, s5, v3, vcc_lo
	global_load_b32 v15, v[2:3], off
.LBB37_10:
	s_or_b32 exec_lo, exec_lo, s13
	v_cndmask_b32_e64 v24, 0, 1, s12
	s_and_not1_b32 vcc_lo, exec_lo, s12
	s_cbranch_vccnz .LBB37_12
; %bb.11:
	v_lshlrev_b64 v[0:1], 1, v[0:1]
	s_delay_alu instid0(VALU_DEP_1) | instskip(NEXT) | instid1(VALU_DEP_2)
	v_add_co_u32 v0, vcc_lo, s10, v0
	v_add_co_ci_u32_e32 v1, vcc_lo, s11, v1, vcc_lo
	global_load_u16 v0, v[0:1], off
	s_waitcnt vmcnt(0)
	v_cvt_f32_f16_e32 v14, v0
.LBB37_12:
	v_or_b32_e32 v16, 2, v4
	v_dual_mov_b32 v18, 0 :: v_dual_mov_b32 v17, 0
	s_delay_alu instid0(VALU_DEP_2) | instskip(NEXT) | instid1(VALU_DEP_1)
	v_add_nc_u32_e32 v0, v16, v5
	v_xor_b32_e32 v0, v0, v5
	s_delay_alu instid0(VALU_DEP_1) | instskip(NEXT) | instid1(VALU_DEP_1)
	v_mul_hi_u32 v1, v0, v6
	v_mul_lo_u32 v2, v1, s3
	s_delay_alu instid0(VALU_DEP_1) | instskip(SKIP_1) | instid1(VALU_DEP_2)
	v_sub_nc_u32_e32 v0, v0, v2
	v_add_nc_u32_e32 v2, 1, v1
	v_subrev_nc_u32_e32 v3, s3, v0
	v_cmp_le_u32_e32 vcc_lo, s3, v0
	s_delay_alu instid0(VALU_DEP_2) | instskip(NEXT) | instid1(VALU_DEP_1)
	v_dual_cndmask_b32 v1, v1, v2 :: v_dual_cndmask_b32 v0, v0, v3
	v_add_nc_u32_e32 v2, 1, v1
	s_delay_alu instid0(VALU_DEP_2) | instskip(NEXT) | instid1(VALU_DEP_2)
	v_cmp_le_u32_e32 vcc_lo, s3, v0
	v_cndmask_b32_e32 v0, v1, v2, vcc_lo
	v_cmp_ne_u32_e32 vcc_lo, 1, v22
	s_delay_alu instid0(VALU_DEP_2) | instskip(SKIP_1) | instid1(VALU_DEP_1)
	v_xor_b32_e32 v0, v0, v7
	s_and_b32 vcc_lo, exec_lo, vcc_lo
	v_sub_nc_u32_e32 v2, v0, v7
	s_delay_alu instid0(VALU_DEP_1) | instskip(NEXT) | instid1(VALU_DEP_1)
	v_mul_lo_u32 v0, v2, s9
	v_sub_nc_u32_e32 v0, v16, v0
	s_delay_alu instid0(VALU_DEP_1)
	v_ashrrev_i32_e32 v1, 31, v0
	s_cbranch_vccnz .LBB37_14
; %bb.13:
	s_delay_alu instid0(VALU_DEP_1) | instskip(NEXT) | instid1(VALU_DEP_1)
	v_lshlrev_b64 v[19:20], 2, v[0:1]
	v_add_co_u32 v19, vcc_lo, s6, v19
	s_delay_alu instid0(VALU_DEP_2)
	v_add_co_ci_u32_e32 v20, vcc_lo, s7, v20, vcc_lo
	global_load_b32 v17, v[19:20], off
.LBB37_14:
	s_mov_b32 s12, exec_lo
	v_cmpx_gt_i32_e64 s8, v2
	s_cbranch_execz .LBB37_16
; %bb.15:
	v_ashrrev_i32_e32 v3, 31, v2
	s_delay_alu instid0(VALU_DEP_1) | instskip(NEXT) | instid1(VALU_DEP_1)
	v_lshlrev_b64 v[2:3], 2, v[2:3]
	v_add_co_u32 v2, vcc_lo, s4, v2
	s_delay_alu instid0(VALU_DEP_2)
	v_add_co_ci_u32_e32 v3, vcc_lo, s5, v3, vcc_lo
	global_load_b32 v18, v[2:3], off
.LBB37_16:
	s_or_b32 exec_lo, exec_lo, s12
	v_cmp_ne_u32_e32 vcc_lo, 1, v24
	v_mov_b32_e32 v19, 0
	v_mov_b32_e32 v21, 0
	s_cbranch_vccnz .LBB37_18
; %bb.17:
	v_lshlrev_b64 v[0:1], 1, v[0:1]
	s_delay_alu instid0(VALU_DEP_1) | instskip(NEXT) | instid1(VALU_DEP_2)
	v_add_co_u32 v0, vcc_lo, s10, v0
	v_add_co_ci_u32_e32 v1, vcc_lo, s11, v1, vcc_lo
	global_load_u16 v0, v[0:1], off
	s_waitcnt vmcnt(0)
	v_cvt_f32_f16_e32 v21, v0
.LBB37_18:
	v_or_b32_e32 v20, 3, v4
	s_delay_alu instid0(VALU_DEP_1) | instskip(NEXT) | instid1(VALU_DEP_1)
	v_add_nc_u32_e32 v0, v20, v5
	v_xor_b32_e32 v0, v0, v5
	s_delay_alu instid0(VALU_DEP_1) | instskip(NEXT) | instid1(VALU_DEP_1)
	v_mul_hi_u32 v1, v0, v6
	v_mul_lo_u32 v2, v1, s3
	s_delay_alu instid0(VALU_DEP_1) | instskip(SKIP_1) | instid1(VALU_DEP_2)
	v_sub_nc_u32_e32 v0, v0, v2
	v_add_nc_u32_e32 v2, 1, v1
	v_subrev_nc_u32_e32 v3, s3, v0
	v_cmp_le_u32_e32 vcc_lo, s3, v0
	s_delay_alu instid0(VALU_DEP_2) | instskip(NEXT) | instid1(VALU_DEP_1)
	v_dual_cndmask_b32 v1, v1, v2 :: v_dual_cndmask_b32 v0, v0, v3
	v_add_nc_u32_e32 v2, 1, v1
	s_delay_alu instid0(VALU_DEP_2) | instskip(NEXT) | instid1(VALU_DEP_2)
	v_cmp_le_u32_e32 vcc_lo, s3, v0
	v_cndmask_b32_e32 v0, v1, v2, vcc_lo
	v_cmp_ne_u32_e32 vcc_lo, 1, v22
	s_delay_alu instid0(VALU_DEP_2) | instskip(SKIP_1) | instid1(VALU_DEP_1)
	v_xor_b32_e32 v0, v0, v7
	s_and_b32 vcc_lo, exec_lo, vcc_lo
	v_sub_nc_u32_e32 v2, v0, v7
	s_delay_alu instid0(VALU_DEP_1) | instskip(NEXT) | instid1(VALU_DEP_1)
	v_mul_lo_u32 v0, v2, s9
	v_sub_nc_u32_e32 v0, v20, v0
	s_delay_alu instid0(VALU_DEP_1)
	v_ashrrev_i32_e32 v1, 31, v0
	s_cbranch_vccnz .LBB37_20
; %bb.19:
	s_delay_alu instid0(VALU_DEP_1) | instskip(NEXT) | instid1(VALU_DEP_1)
	v_lshlrev_b64 v[6:7], 2, v[0:1]
	v_add_co_u32 v6, vcc_lo, s6, v6
	s_delay_alu instid0(VALU_DEP_2)
	v_add_co_ci_u32_e32 v7, vcc_lo, s7, v7, vcc_lo
	global_load_b32 v19, v[6:7], off
.LBB37_20:
	s_load_b64 s[6:7], s[0:1], 0x0
	v_dual_mov_b32 v22, 0 :: v_dual_mov_b32 v23, 0
	s_mov_b32 s3, exec_lo
	v_cmpx_gt_i32_e64 s8, v2
	s_cbranch_execz .LBB37_22
; %bb.21:
	v_ashrrev_i32_e32 v3, 31, v2
	s_delay_alu instid0(VALU_DEP_1) | instskip(NEXT) | instid1(VALU_DEP_1)
	v_lshlrev_b64 v[2:3], 2, v[2:3]
	v_add_co_u32 v2, vcc_lo, s4, v2
	s_delay_alu instid0(VALU_DEP_2)
	v_add_co_ci_u32_e32 v3, vcc_lo, s5, v3, vcc_lo
	global_load_b32 v23, v[2:3], off
.LBB37_22:
	s_or_b32 exec_lo, exec_lo, s3
	v_cmp_ne_u32_e32 vcc_lo, 1, v24
	s_cbranch_vccnz .LBB37_24
; %bb.23:
	v_lshlrev_b64 v[0:1], 1, v[0:1]
	s_delay_alu instid0(VALU_DEP_1) | instskip(NEXT) | instid1(VALU_DEP_2)
	v_add_co_u32 v0, vcc_lo, s10, v0
	v_add_co_ci_u32_e32 v1, vcc_lo, s11, v1, vcc_lo
	global_load_u16 v0, v[0:1], off
	s_waitcnt vmcnt(0)
	v_cvt_f32_f16_e32 v22, v0
.LBB37_24:
	s_mul_i32 s4, s9, s8
	s_add_i32 s3, s2, 0x800
	s_sub_i32 s5, s4, s2
	s_cmp_ge_i32 s3, s4
	s_mov_b32 s8, 0
	s_cselect_b32 s5, s5, 0x800
	s_ashr_i32 s3, s2, 31
	s_mov_b32 s9, s8
	s_mov_b32 s10, s8
	;; [unrolled: 1-line block ×3, first 2 shown]
	v_lshlrev_b32_e32 v0, 2, v8
	s_lshl_b64 s[2:3], s[2:3], 2
	s_waitcnt lgkmcnt(0)
	s_add_u32 s2, s6, s2
	s_addc_u32 s3, s7, s3
	v_add_co_u32 v6, s2, s2, v0
	v_dual_mov_b32 v0, s8 :: v_dual_mov_b32 v3, s11
	v_add_co_ci_u32_e64 v7, null, s3, 0, s2
	v_dual_mov_b32 v1, s9 :: v_dual_mov_b32 v2, s10
	s_mov_b32 s2, exec_lo
	v_cmpx_gt_u32_e64 s5, v8
	s_xor_b32 s2, exec_lo, s2
	s_cbranch_execz .LBB37_26
; %bb.25:
	global_load_b32 v0, v[6:7], off
	v_mov_b32_e32 v1, 0
	s_delay_alu instid0(VALU_DEP_1)
	v_mov_b32_e32 v2, v1
	v_mov_b32_e32 v3, v1
.LBB37_26:
	s_or_b32 exec_lo, exec_lo, s2
	v_or_b32_e32 v24, 1, v8
	s_mov_b32 s2, exec_lo
	s_delay_alu instid0(VALU_DEP_1)
	v_cmpx_gt_u32_e64 s5, v24
	s_cbranch_execz .LBB37_28
; %bb.27:
	global_load_b32 v1, v[6:7], off offset:4
.LBB37_28:
	s_or_b32 exec_lo, exec_lo, s2
	v_or_b32_e32 v24, 2, v8
	s_mov_b32 s2, exec_lo
	s_delay_alu instid0(VALU_DEP_1)
	v_cmpx_gt_u32_e64 s5, v24
	s_cbranch_execz .LBB37_30
; %bb.29:
	global_load_b32 v2, v[6:7], off offset:8
.LBB37_30:
	s_or_b32 exec_lo, exec_lo, s2
	v_or_b32_e32 v8, 3, v8
	s_mov_b32 s2, exec_lo
	s_delay_alu instid0(VALU_DEP_1)
	v_cmpx_gt_u32_e64 s5, v8
	s_cbranch_execz .LBB37_32
; %bb.31:
	global_load_b32 v3, v[6:7], off offset:12
.LBB37_32:
	s_or_b32 exec_lo, exec_lo, s2
	s_load_b64 s[0:1], s[0:1], 0x18
	s_mov_b32 s2, exec_lo
	v_cmpx_gt_i32_e64 s4, v4
	s_cbranch_execnz .LBB37_37
; %bb.33:
	s_or_b32 exec_lo, exec_lo, s2
	s_delay_alu instid0(SALU_CYCLE_1)
	s_mov_b32 s2, exec_lo
	v_cmpx_gt_i32_e64 s4, v12
	s_cbranch_execnz .LBB37_38
.LBB37_34:
	s_or_b32 exec_lo, exec_lo, s2
	s_delay_alu instid0(SALU_CYCLE_1)
	s_mov_b32 s2, exec_lo
	v_cmpx_gt_i32_e64 s4, v16
	s_cbranch_execnz .LBB37_39
.LBB37_35:
	s_or_b32 exec_lo, exec_lo, s2
	s_delay_alu instid0(SALU_CYCLE_1)
	s_mov_b32 s2, exec_lo
	v_cmpx_gt_i32_e64 s4, v20
	s_cbranch_execnz .LBB37_40
.LBB37_36:
	s_nop 0
	s_sendmsg sendmsg(MSG_DEALLOC_VGPRS)
	s_endpgm
.LBB37_37:
	s_waitcnt vmcnt(0)
	v_cvt_f32_i32_e32 v0, v0
	v_lshlrev_b64 v[6:7], 1, v[4:5]
	s_mov_b32 s3, 0x38820610
	s_delay_alu instid0(VALU_DEP_2) | instskip(SKIP_1) | instid1(VALU_DEP_2)
	v_mul_f32_e32 v0, v9, v0
	s_waitcnt lgkmcnt(0)
	v_add_co_u32 v6, vcc_lo, s0, v6
	s_delay_alu instid0(VALU_DEP_3) | instskip(NEXT) | instid1(VALU_DEP_3)
	v_add_co_ci_u32_e32 v7, vcc_lo, s1, v7, vcc_lo
	v_mul_f32_e32 v0, v10, v0
	s_delay_alu instid0(VALU_DEP_1) | instskip(SKIP_2) | instid1(SALU_CYCLE_1)
	v_fma_mixlo_f16 v0, v0, s3, v13
	global_store_b16 v[6:7], v0, off
	s_or_b32 exec_lo, exec_lo, s2
	s_mov_b32 s2, exec_lo
	v_cmpx_gt_i32_e64 s4, v12
	s_cbranch_execz .LBB37_34
.LBB37_38:
	s_waitcnt vmcnt(0)
	v_cvt_f32_i32_e32 v0, v1
	s_mov_b32 s3, 0x38820610
	s_delay_alu instid0(VALU_DEP_1) | instskip(NEXT) | instid1(VALU_DEP_1)
	v_mul_f32_e32 v0, v15, v0
	v_mul_f32_e32 v6, v11, v0
	v_lshlrev_b64 v[0:1], 1, v[4:5]
	s_delay_alu instid0(VALU_DEP_2) | instskip(SKIP_1) | instid1(VALU_DEP_2)
	v_fma_mixlo_f16 v6, v6, s3, v14
	s_waitcnt lgkmcnt(0)
	v_add_co_u32 v0, vcc_lo, s0, v0
	s_delay_alu instid0(VALU_DEP_3) | instskip(SKIP_2) | instid1(SALU_CYCLE_1)
	v_add_co_ci_u32_e32 v1, vcc_lo, s1, v1, vcc_lo
	global_store_b16 v[0:1], v6, off offset:2
	s_or_b32 exec_lo, exec_lo, s2
	s_mov_b32 s2, exec_lo
	v_cmpx_gt_i32_e64 s4, v16
	s_cbranch_execz .LBB37_35
.LBB37_39:
	s_waitcnt vmcnt(0)
	v_cvt_f32_i32_e32 v0, v2
	s_mov_b32 s3, 0x38820610
	s_delay_alu instid0(VALU_DEP_1) | instskip(NEXT) | instid1(VALU_DEP_1)
	v_mul_f32_e32 v0, v18, v0
	v_mul_f32_e32 v2, v17, v0
	v_lshlrev_b64 v[0:1], 1, v[4:5]
	s_delay_alu instid0(VALU_DEP_2) | instskip(SKIP_1) | instid1(VALU_DEP_2)
	v_fma_mixlo_f16 v2, v2, s3, v21
	s_waitcnt lgkmcnt(0)
	v_add_co_u32 v0, vcc_lo, s0, v0
	s_delay_alu instid0(VALU_DEP_3) | instskip(SKIP_2) | instid1(SALU_CYCLE_1)
	v_add_co_ci_u32_e32 v1, vcc_lo, s1, v1, vcc_lo
	global_store_b16 v[0:1], v2, off offset:4
	s_or_b32 exec_lo, exec_lo, s2
	s_mov_b32 s2, exec_lo
	v_cmpx_gt_i32_e64 s4, v20
	s_cbranch_execz .LBB37_36
.LBB37_40:
	s_waitcnt vmcnt(0)
	v_cvt_f32_i32_e32 v0, v3
	s_mov_b32 s2, 0x38820610
	s_delay_alu instid0(VALU_DEP_1) | instskip(NEXT) | instid1(VALU_DEP_1)
	v_mul_f32_e32 v0, v23, v0
	v_mul_f32_e32 v2, v19, v0
	v_lshlrev_b64 v[0:1], 1, v[4:5]
	s_delay_alu instid0(VALU_DEP_2) | instskip(SKIP_1) | instid1(VALU_DEP_2)
	v_fma_mixlo_f16 v2, v2, s2, v22
	s_waitcnt lgkmcnt(0)
	v_add_co_u32 v0, vcc_lo, s0, v0
	s_delay_alu instid0(VALU_DEP_3)
	v_add_co_ci_u32_e32 v1, vcc_lo, s1, v1, vcc_lo
	global_store_b16 v[0:1], v2, off offset:6
	s_nop 0
	s_sendmsg sendmsg(MSG_DEALLOC_VGPRS)
	s_endpgm
	.section	.rodata,"a",@progbits
	.p2align	6, 0x0
	.amdhsa_kernel _Z22kdequant_mm_int32_fp16ILi4ELi512EEvPiPfS1_P6__halfS3_iii
		.amdhsa_group_segment_fixed_size 0
		.amdhsa_private_segment_fixed_size 0
		.amdhsa_kernarg_size 52
		.amdhsa_user_sgpr_count 15
		.amdhsa_user_sgpr_dispatch_ptr 0
		.amdhsa_user_sgpr_queue_ptr 0
		.amdhsa_user_sgpr_kernarg_segment_ptr 1
		.amdhsa_user_sgpr_dispatch_id 0
		.amdhsa_user_sgpr_private_segment_size 0
		.amdhsa_wavefront_size32 1
		.amdhsa_uses_dynamic_stack 0
		.amdhsa_enable_private_segment 0
		.amdhsa_system_sgpr_workgroup_id_x 1
		.amdhsa_system_sgpr_workgroup_id_y 0
		.amdhsa_system_sgpr_workgroup_id_z 0
		.amdhsa_system_sgpr_workgroup_info 0
		.amdhsa_system_vgpr_workitem_id 0
		.amdhsa_next_free_vgpr 25
		.amdhsa_next_free_sgpr 16
		.amdhsa_reserve_vcc 1
		.amdhsa_float_round_mode_32 0
		.amdhsa_float_round_mode_16_64 0
		.amdhsa_float_denorm_mode_32 3
		.amdhsa_float_denorm_mode_16_64 3
		.amdhsa_dx10_clamp 1
		.amdhsa_ieee_mode 1
		.amdhsa_fp16_overflow 0
		.amdhsa_workgroup_processor_mode 1
		.amdhsa_memory_ordered 1
		.amdhsa_forward_progress 0
		.amdhsa_shared_vgpr_count 0
		.amdhsa_exception_fp_ieee_invalid_op 0
		.amdhsa_exception_fp_denorm_src 0
		.amdhsa_exception_fp_ieee_div_zero 0
		.amdhsa_exception_fp_ieee_overflow 0
		.amdhsa_exception_fp_ieee_underflow 0
		.amdhsa_exception_fp_ieee_inexact 0
		.amdhsa_exception_int_div_zero 0
	.end_amdhsa_kernel
	.section	.text._Z22kdequant_mm_int32_fp16ILi4ELi512EEvPiPfS1_P6__halfS3_iii,"axG",@progbits,_Z22kdequant_mm_int32_fp16ILi4ELi512EEvPiPfS1_P6__halfS3_iii,comdat
.Lfunc_end37:
	.size	_Z22kdequant_mm_int32_fp16ILi4ELi512EEvPiPfS1_P6__halfS3_iii, .Lfunc_end37-_Z22kdequant_mm_int32_fp16ILi4ELi512EEvPiPfS1_P6__halfS3_iii
                                        ; -- End function
	.section	.AMDGPU.csdata,"",@progbits
; Kernel info:
; codeLenInByte = 2072
; NumSgprs: 18
; NumVgprs: 25
; ScratchSize: 0
; MemoryBound: 0
; FloatMode: 240
; IeeeMode: 1
; LDSByteSize: 0 bytes/workgroup (compile time only)
; SGPRBlocks: 2
; VGPRBlocks: 3
; NumSGPRsForWavesPerEU: 18
; NumVGPRsForWavesPerEU: 25
; Occupancy: 16
; WaveLimiterHint : 0
; COMPUTE_PGM_RSRC2:SCRATCH_EN: 0
; COMPUTE_PGM_RSRC2:USER_SGPR: 15
; COMPUTE_PGM_RSRC2:TRAP_HANDLER: 0
; COMPUTE_PGM_RSRC2:TGID_X_EN: 1
; COMPUTE_PGM_RSRC2:TGID_Y_EN: 0
; COMPUTE_PGM_RSRC2:TGID_Z_EN: 0
; COMPUTE_PGM_RSRC2:TIDIG_COMP_CNT: 0
	.section	.text._Z33kPreconditionOptimizer32bit1StateI6__halfLi1ELi4096ELi8EEvPT_S2_PfS3_ffffiffi,"axG",@progbits,_Z33kPreconditionOptimizer32bit1StateI6__halfLi1ELi4096ELi8EEvPT_S2_PfS3_ffffiffi,comdat
